;; amdgpu-corpus repo=ROCm/rocFFT kind=compiled arch=gfx950 opt=O3
	.text
	.amdgcn_target "amdgcn-amd-amdhsa--gfx950"
	.amdhsa_code_object_version 6
	.protected	bluestein_single_back_len378_dim1_dp_op_CI_CI ; -- Begin function bluestein_single_back_len378_dim1_dp_op_CI_CI
	.globl	bluestein_single_back_len378_dim1_dp_op_CI_CI
	.p2align	8
	.type	bluestein_single_back_len378_dim1_dp_op_CI_CI,@function
bluestein_single_back_len378_dim1_dp_op_CI_CI: ; @bluestein_single_back_len378_dim1_dp_op_CI_CI
; %bb.0:
	s_load_dwordx4 s[4:7], s[0:1], 0x28
	v_mul_u32_u24_e32 v1, 0x209, v0
	v_add_u32_sdwa v68, s2, v1 dst_sel:DWORD dst_unused:UNUSED_PAD src0_sel:DWORD src1_sel:WORD_1
	v_mov_b32_e32 v69, 0
	s_waitcnt lgkmcnt(0)
	v_cmp_gt_u64_e32 vcc, s[4:5], v[68:69]
	s_and_saveexec_b64 s[2:3], vcc
	s_cbranch_execz .LBB0_23
; %bb.1:
	s_load_dwordx2 s[14:15], s[0:1], 0x0
	s_load_dwordx2 s[12:13], s[0:1], 0x38
	s_movk_i32 s2, 0x7e
	v_mul_lo_u16_sdwa v1, v1, s2 dst_sel:DWORD dst_unused:UNUSED_PAD src0_sel:WORD_1 src1_sel:DWORD
	v_sub_u16_e32 v69, v0, v1
	v_cmp_gt_u16_e64 s[4:5], 63, v69
	v_lshlrev_b32_e32 v70, 4, v69
	s_and_saveexec_b64 s[2:3], s[4:5]
	s_cbranch_execz .LBB0_3
; %bb.2:
	s_load_dwordx2 s[8:9], s[0:1], 0x18
	v_mov_b32_e32 v0, s6
	v_mov_b32_e32 v1, s7
	;; [unrolled: 1-line block ×4, first 2 shown]
	s_waitcnt lgkmcnt(0)
	s_load_dwordx4 s[8:11], s[8:9], 0x0
	v_lshl_add_u64 v[40:41], s[14:15], 0, v[70:71]
	s_waitcnt lgkmcnt(0)
	v_mad_u64_u32 v[2:3], s[6:7], s10, v68, 0
	v_mad_u64_u32 v[4:5], s[6:7], s8, v69, 0
	v_mov_b32_e32 v6, v3
	v_mov_b32_e32 v8, v5
	v_mad_u64_u32 v[6:7], s[6:7], s11, v68, v[6:7]
	v_mov_b32_e32 v3, v6
	v_mad_u64_u32 v[6:7], s[6:7], s9, v69, v[8:9]
	v_mov_b32_e32 v5, v6
	v_lshl_add_u64 v[0:1], v[2:3], 4, v[0:1]
	v_lshl_add_u64 v[8:9], v[4:5], 4, v[0:1]
	v_mad_u64_u32 v[24:25], s[6:7], s8, v46, v[8:9]
	s_mulk_i32 s9, 0x3f0
	v_add_u32_e32 v25, s9, v25
	v_mad_u64_u32 v[26:27], s[6:7], s8, v46, v[24:25]
	global_load_dwordx4 v[0:3], v[8:9], off
	global_load_dwordx4 v[4:7], v70, s[14:15]
	v_add_u32_e32 v27, s9, v27
	v_mad_u64_u32 v[42:43], s[6:7], s8, v46, v[26:27]
	global_load_dwordx4 v[8:11], v[24:25], off
	global_load_dwordx4 v[12:15], v[26:27], off
	global_load_dwordx4 v[16:19], v70, s[14:15] offset:1008
	global_load_dwordx4 v[20:23], v70, s[14:15] offset:2016
	v_add_u32_e32 v43, s9, v43
	v_mad_u64_u32 v[44:45], s[6:7], s8, v46, v[42:43]
	v_add_u32_e32 v45, s9, v45
	v_mad_u64_u32 v[48:49], s[6:7], s8, v46, v[44:45]
	global_load_dwordx4 v[24:27], v[42:43], off
	global_load_dwordx4 v[28:31], v[44:45], off
	global_load_dwordx4 v[32:35], v70, s[14:15] offset:3024
	global_load_dwordx4 v[36:39], v70, s[14:15] offset:4032
	s_movk_i32 s6, 0x1000
	v_add_co_u32_e32 v50, vcc, s6, v40
	v_add_u32_e32 v49, s9, v49
	s_nop 0
	v_addc_co_u32_e32 v51, vcc, 0, v41, vcc
	global_load_dwordx4 v[40:43], v[50:51], off offset:944
	global_load_dwordx4 v[44:47], v[48:49], off
	s_waitcnt vmcnt(10)
	v_mul_f64 v[48:49], v[2:3], v[6:7]
	v_mul_f64 v[6:7], v[0:1], v[6:7]
	v_fmac_f64_e32 v[48:49], v[0:1], v[4:5]
	v_fma_f64 v[50:51], v[2:3], v[4:5], -v[6:7]
	s_waitcnt vmcnt(7)
	v_mul_f64 v[0:1], v[10:11], v[18:19]
	v_mul_f64 v[2:3], v[8:9], v[18:19]
	v_fmac_f64_e32 v[0:1], v[8:9], v[16:17]
	v_fma_f64 v[2:3], v[10:11], v[16:17], -v[2:3]
	ds_write_b128 v70, v[0:3] offset:1008
	s_waitcnt vmcnt(6)
	v_mul_f64 v[0:1], v[14:15], v[22:23]
	v_mul_f64 v[2:3], v[12:13], v[22:23]
	v_fmac_f64_e32 v[0:1], v[12:13], v[20:21]
	v_fma_f64 v[2:3], v[14:15], v[20:21], -v[2:3]
	ds_write_b128 v70, v[0:3] offset:2016
	;; [unrolled: 6-line block ×4, first 2 shown]
	s_waitcnt vmcnt(0)
	v_mul_f64 v[0:1], v[46:47], v[42:43]
	v_mul_f64 v[2:3], v[44:45], v[42:43]
	v_fmac_f64_e32 v[0:1], v[44:45], v[40:41]
	v_fma_f64 v[2:3], v[46:47], v[40:41], -v[2:3]
	ds_write_b128 v70, v[48:51]
	ds_write_b128 v70, v[0:3] offset:5040
.LBB0_3:
	s_or_b64 exec, exec, s[2:3]
	s_load_dwordx2 s[8:9], s[0:1], 0x20
	s_load_dwordx2 s[6:7], s[0:1], 0x8
	s_waitcnt lgkmcnt(0)
	s_barrier
	s_waitcnt lgkmcnt(0)
                                        ; implicit-def: $vgpr0_vgpr1
                                        ; implicit-def: $vgpr4_vgpr5
                                        ; implicit-def: $vgpr12_vgpr13
                                        ; implicit-def: $vgpr8_vgpr9
                                        ; implicit-def: $vgpr20_vgpr21
                                        ; implicit-def: $vgpr16_vgpr17
	s_and_saveexec_b64 s[0:1], s[4:5]
	s_cbranch_execz .LBB0_5
; %bb.4:
	ds_read_b128 v[0:3], v70
	ds_read_b128 v[4:7], v70 offset:1008
	ds_read_b128 v[12:15], v70 offset:2016
	;; [unrolled: 1-line block ×5, first 2 shown]
.LBB0_5:
	s_or_b64 exec, exec, s[0:1]
	s_waitcnt lgkmcnt(1)
	v_add_f64 v[26:27], v[12:13], v[20:21]
	s_mov_b32 s0, 0xe8584caa
	v_add_f64 v[24:25], v[0:1], v[12:13]
	v_fmac_f64_e32 v[0:1], -0.5, v[26:27]
	v_add_f64 v[28:29], v[14:15], -v[22:23]
	s_mov_b32 s1, 0x3febb67a
	s_mov_b32 s3, 0xbfebb67a
	;; [unrolled: 1-line block ×3, first 2 shown]
	v_fma_f64 v[26:27], s[0:1], v[28:29], v[0:1]
	v_fmac_f64_e32 v[0:1], s[2:3], v[28:29]
	v_add_f64 v[28:29], v[2:3], v[14:15]
	v_add_f64 v[14:15], v[14:15], v[22:23]
	v_add_f64 v[24:25], v[24:25], v[20:21]
	v_fmac_f64_e32 v[2:3], -0.5, v[14:15]
	v_add_f64 v[12:13], v[12:13], -v[20:21]
	s_waitcnt lgkmcnt(0)
	v_add_f64 v[20:21], v[8:9], v[16:17]
	v_fma_f64 v[14:15], s[2:3], v[12:13], v[2:3]
	v_fmac_f64_e32 v[2:3], s[0:1], v[12:13]
	v_add_f64 v[12:13], v[4:5], v[8:9]
	v_fmac_f64_e32 v[4:5], -0.5, v[20:21]
	v_add_f64 v[20:21], v[10:11], -v[18:19]
	v_add_f64 v[28:29], v[28:29], v[22:23]
	v_fma_f64 v[22:23], s[0:1], v[20:21], v[4:5]
	v_fmac_f64_e32 v[4:5], s[2:3], v[20:21]
	v_add_f64 v[20:21], v[6:7], v[10:11]
	v_add_f64 v[10:11], v[10:11], v[18:19]
	v_fmac_f64_e32 v[6:7], -0.5, v[10:11]
	v_add_f64 v[8:9], v[8:9], -v[16:17]
	v_add_f64 v[20:21], v[20:21], v[18:19]
	v_fma_f64 v[18:19], s[2:3], v[8:9], v[6:7]
	v_fmac_f64_e32 v[6:7], s[0:1], v[8:9]
	v_mul_f64 v[10:11], v[4:5], -0.5
	v_add_f64 v[12:13], v[12:13], v[16:17]
	v_mul_f64 v[8:9], v[18:19], s[0:1]
	v_fmac_f64_e32 v[10:11], s[0:1], v[6:7]
	v_mul_f64 v[16:17], v[22:23], s[2:3]
	v_mul_f64 v[6:7], v[6:7], -0.5
	v_fmac_f64_e32 v[8:9], 0.5, v[22:23]
	v_fmac_f64_e32 v[16:17], 0.5, v[18:19]
	v_fmac_f64_e32 v[6:7], s[2:3], v[4:5]
	v_add_f64 v[40:41], v[24:25], -v[12:13]
	v_add_f64 v[44:45], v[26:27], -v[8:9]
	;; [unrolled: 1-line block ×6, first 2 shown]
	v_mul_lo_u16_e32 v84, 6, v69
	s_barrier
	s_and_saveexec_b64 s[10:11], s[4:5]
	s_cbranch_execz .LBB0_7
; %bb.6:
	v_add_f64 v[2:3], v[2:3], v[6:7]
	v_add_f64 v[6:7], v[14:15], v[16:17]
	;; [unrolled: 1-line block ×5, first 2 shown]
	v_lshlrev_b32_e32 v8, 4, v84
	v_add_f64 v[0:1], v[0:1], v[10:11]
	ds_write_b128 v8, v[12:15]
	ds_write_b128 v8, v[4:7] offset:16
	ds_write_b128 v8, v[0:3] offset:32
	;; [unrolled: 1-line block ×5, first 2 shown]
.LBB0_7:
	s_or_b64 exec, exec, s[10:11]
	s_movk_i32 s16, 0xab
	v_mul_lo_u16_sdwa v0, v69, s16 dst_sel:DWORD dst_unused:UNUSED_PAD src0_sel:BYTE_0 src1_sel:DWORD
	v_lshrrev_b16_e32 v20, 10, v0
	v_mul_lo_u16_e32 v0, 6, v20
	v_sub_u16_e32 v0, v69, v0
	v_and_b32_e32 v21, 0xff, v0
	v_lshlrev_b32_e32 v8, 5, v21
	s_load_dwordx4 s[8:11], s[8:9], 0x0
	s_waitcnt lgkmcnt(0)
	s_barrier
	global_load_dwordx4 v[4:7], v8, s[6:7]
	global_load_dwordx4 v[0:3], v8, s[6:7] offset:16
	ds_read_b128 v[8:11], v70
	ds_read_b128 v[12:15], v70 offset:2016
	ds_read_b128 v[16:19], v70 offset:4032
	v_mov_b32_e32 v22, 57
	v_mul_lo_u16_sdwa v22, v69, v22 dst_sel:DWORD dst_unused:UNUSED_PAD src0_sel:BYTE_0 src1_sel:DWORD
	v_lshrrev_b16_e32 v30, 10, v22
	v_mul_lo_u16_e32 v22, 18, v30
	v_mul_u32_u24_e32 v20, 18, v20
	v_sub_u16_e32 v22, v69, v22
	v_and_b32_e32 v31, 0xff, v22
	v_add_lshl_u32 v85, v20, v21, 4
	v_lshlrev_b32_e32 v32, 5, v31
	s_waitcnt lgkmcnt(0)
	s_barrier
	s_waitcnt lgkmcnt(0)
                                        ; implicit-def: $vgpr64_vgpr65
	s_waitcnt vmcnt(1)
	v_mul_f64 v[20:21], v[14:15], v[6:7]
	v_mul_f64 v[22:23], v[12:13], v[6:7]
	s_waitcnt vmcnt(0)
	v_mul_f64 v[24:25], v[18:19], v[2:3]
	v_mul_f64 v[26:27], v[16:17], v[2:3]
	v_fma_f64 v[12:13], v[12:13], v[4:5], -v[20:21]
	v_fmac_f64_e32 v[22:23], v[14:15], v[4:5]
	v_fma_f64 v[14:15], v[16:17], v[0:1], -v[24:25]
	v_fmac_f64_e32 v[26:27], v[18:19], v[0:1]
	v_add_f64 v[18:19], v[12:13], v[14:15]
	v_add_f64 v[20:21], v[22:23], -v[26:27]
	v_add_f64 v[24:25], v[10:11], v[22:23]
	v_add_f64 v[22:23], v[22:23], v[26:27]
	;; [unrolled: 1-line block ×3, first 2 shown]
	v_add_f64 v[28:29], v[12:13], -v[14:15]
	v_fmac_f64_e32 v[8:9], -0.5, v[18:19]
	v_fmac_f64_e32 v[10:11], -0.5, v[22:23]
	v_add_f64 v[12:13], v[16:17], v[14:15]
	v_add_f64 v[14:15], v[24:25], v[26:27]
	v_fma_f64 v[16:17], s[0:1], v[20:21], v[8:9]
	v_fmac_f64_e32 v[8:9], s[2:3], v[20:21]
	v_fma_f64 v[18:19], s[2:3], v[28:29], v[10:11]
	v_fmac_f64_e32 v[10:11], s[0:1], v[28:29]
	ds_write_b128 v85, v[12:15]
	ds_write_b128 v85, v[16:19] offset:96
	ds_write_b128 v85, v[8:11] offset:192
	s_waitcnt lgkmcnt(0)
	s_barrier
	global_load_dwordx4 v[12:15], v32, s[6:7] offset:192
	global_load_dwordx4 v[8:11], v32, s[6:7] offset:208
	v_mul_u32_u24_e32 v16, 54, v30
	v_add_lshl_u32 v86, v16, v31, 4
	ds_read_b128 v[56:59], v70
	ds_read_b128 v[16:19], v70 offset:2016
	ds_read_b128 v[20:23], v70 offset:4032
	s_waitcnt lgkmcnt(0)
	s_barrier
	s_waitcnt vmcnt(1)
	v_mul_f64 v[24:25], v[18:19], v[14:15]
	v_mul_f64 v[26:27], v[16:17], v[14:15]
	s_waitcnt vmcnt(0)
	v_mul_f64 v[28:29], v[22:23], v[10:11]
	v_mul_f64 v[30:31], v[20:21], v[10:11]
	v_fma_f64 v[16:17], v[16:17], v[12:13], -v[24:25]
	v_fmac_f64_e32 v[26:27], v[18:19], v[12:13]
	v_fma_f64 v[18:19], v[20:21], v[8:9], -v[28:29]
	v_fmac_f64_e32 v[30:31], v[22:23], v[8:9]
	v_add_f64 v[22:23], v[16:17], v[18:19]
	v_add_f64 v[24:25], v[26:27], -v[30:31]
	v_add_f64 v[28:29], v[58:59], v[26:27]
	v_add_f64 v[26:27], v[26:27], v[30:31]
	;; [unrolled: 1-line block ×3, first 2 shown]
	v_add_f64 v[16:17], v[16:17], -v[18:19]
	v_fmac_f64_e32 v[56:57], -0.5, v[22:23]
	v_fmac_f64_e32 v[58:59], -0.5, v[26:27]
	v_add_f64 v[52:53], v[20:21], v[18:19]
	v_add_f64 v[54:55], v[28:29], v[30:31]
	v_fma_f64 v[60:61], s[0:1], v[24:25], v[56:57]
	v_fmac_f64_e32 v[56:57], s[2:3], v[24:25]
	v_fma_f64 v[62:63], s[2:3], v[16:17], v[58:59]
	v_fmac_f64_e32 v[58:59], s[0:1], v[16:17]
	v_cmp_gt_u16_e64 s[2:3], 54, v69
	ds_write_b128 v86, v[52:55]
	ds_write_b128 v86, v[60:63] offset:288
	ds_write_b128 v86, v[56:59] offset:576
	s_waitcnt lgkmcnt(0)
	s_barrier
	s_and_saveexec_b64 s[0:1], s[2:3]
	s_cbranch_execz .LBB0_9
; %bb.8:
	ds_read_b128 v[52:55], v70
	ds_read_b128 v[60:63], v70 offset:864
	ds_read_b128 v[56:59], v70 offset:1728
	;; [unrolled: 1-line block ×6, first 2 shown]
.LBB0_9:
	s_or_b64 exec, exec, s[0:1]
	v_mov_b32_e32 v16, 19
	v_mul_lo_u16_sdwa v16, v69, v16 dst_sel:DWORD dst_unused:UNUSED_PAD src0_sel:BYTE_0 src1_sel:DWORD
	v_lshrrev_b16_e32 v16, 10, v16
	v_mul_lo_u16_e32 v16, 54, v16
	v_sub_u16_e32 v16, v69, v16
	v_and_b32_e32 v18, 0xff, v16
	s_movk_i32 s0, 0x60
	v_mov_b64_e32 v[16:17], s[6:7]
	v_mad_u64_u32 v[72:73], s[0:1], v18, s0, v[16:17]
	global_load_dwordx4 v[28:31], v[72:73], off offset:768
	global_load_dwordx4 v[24:27], v[72:73], off offset:784
	;; [unrolled: 1-line block ×6, first 2 shown]
	s_mov_b32 s0, 0x36b3c0b5
	s_mov_b32 s6, 0x37e14327
	;; [unrolled: 1-line block ×8, first 2 shown]
	s_waitcnt vmcnt(5) lgkmcnt(5)
	v_mul_f64 v[72:73], v[62:63], v[30:31]
	v_mul_f64 v[74:75], v[60:61], v[30:31]
	s_waitcnt vmcnt(4) lgkmcnt(4)
	v_mul_f64 v[76:77], v[58:59], v[26:27]
	v_mul_f64 v[78:79], v[56:57], v[26:27]
	;; [unrolled: 3-line block ×6, first 2 shown]
	v_fma_f64 v[60:61], v[60:61], v[28:29], -v[72:73]
	v_fmac_f64_e32 v[74:75], v[62:63], v[28:29]
	v_fma_f64 v[56:57], v[56:57], v[24:25], -v[76:77]
	v_fmac_f64_e32 v[78:79], v[58:59], v[24:25]
	v_fma_f64 v[40:41], v[40:41], v[20:21], -v[80:81]
	v_fmac_f64_e32 v[82:83], v[42:43], v[20:21]
	v_fma_f64 v[42:43], v[44:45], v[16:17], -v[88:89]
	v_fmac_f64_e32 v[90:91], v[46:47], v[16:17]
	v_fma_f64 v[44:45], v[48:49], v[32:33], -v[92:93]
	v_fmac_f64_e32 v[94:95], v[50:51], v[32:33]
	v_fma_f64 v[46:47], v[64:65], v[36:37], -v[96:97]
	v_fmac_f64_e32 v[98:99], v[66:67], v[36:37]
	v_add_f64 v[48:49], v[60:61], v[46:47]
	v_add_f64 v[50:51], v[56:57], v[44:45]
	;; [unrolled: 1-line block ×6, first 2 shown]
	v_add_f64 v[44:45], v[56:57], -v[44:45]
	v_add_f64 v[40:41], v[42:43], -v[40:41]
	;; [unrolled: 1-line block ×6, first 2 shown]
	v_add_f64 v[72:73], v[50:51], v[48:49]
	v_add_f64 v[74:75], v[64:65], v[62:63]
	v_add_f64 v[76:77], v[50:51], -v[48:49]
	v_add_f64 v[50:51], v[58:59], -v[50:51]
	;; [unrolled: 1-line block ×4, first 2 shown]
	v_add_f64 v[80:81], v[40:41], v[44:45]
	v_add_f64 v[48:49], v[48:49], -v[58:59]
	v_add_f64 v[62:63], v[62:63], -v[66:67]
	v_add_f64 v[82:83], v[40:41], -v[44:45]
	v_add_f64 v[88:89], v[44:45], -v[46:47]
	v_add_f64 v[44:45], v[42:43], v[56:57]
	v_add_f64 v[58:59], v[58:59], v[72:73]
	;; [unrolled: 1-line block ×4, first 2 shown]
	v_mul_f64 v[74:75], v[50:51], s[0:1]
	v_mul_f64 v[80:81], v[64:65], s[0:1]
	v_add_f64 v[40:41], v[46:47], -v[40:41]
	v_add_f64 v[90:91], v[42:43], -v[56:57]
	v_add_f64 v[42:43], v[60:61], -v[42:43]
	v_add_f64 v[56:57], v[56:57], -v[60:61]
	v_add_f64 v[60:61], v[44:45], v[60:61]
	v_mul_f64 v[48:49], v[48:49], s[6:7]
	v_mul_f64 v[62:63], v[62:63], s[6:7]
	v_add_f64 v[44:45], v[52:53], v[58:59]
	v_add_f64 v[46:47], v[54:55], v[66:67]
	v_fma_f64 v[52:53], v[76:77], s[16:17], -v[74:75]
	v_fma_f64 v[54:55], v[78:79], s[16:17], -v[80:81]
	s_mov_b32 s17, 0xbfe77f67
	v_fma_f64 v[50:51], s[0:1], v[50:51], v[48:49]
	v_fma_f64 v[74:75], v[78:79], s[16:17], -v[62:63]
	v_fmac_f64_e32 v[62:63], s[0:1], v[64:65]
	s_mov_b32 s0, 0x429ad128
	v_mul_f64 v[82:83], v[82:83], s[18:19]
	v_fma_f64 v[48:49], v[76:77], s[16:17], -v[48:49]
	v_mul_f64 v[76:77], v[90:91], s[18:19]
	s_mov_b32 s1, 0x3febfeb5
	s_mov_b32 s7, 0x3fd5d0dc
	;; [unrolled: 1-line block ×3, first 2 shown]
	v_mul_f64 v[64:65], v[88:89], s[0:1]
	v_fma_f64 v[78:79], v[88:89], s[0:1], -v[82:83]
	v_fma_f64 v[80:81], s[6:7], v[40:41], v[82:83]
	v_fma_f64 v[82:83], v[56:57], s[0:1], -v[76:77]
	v_mul_f64 v[56:57], v[56:57], s[0:1]
	s_mov_b32 s0, 0xaaaaaaaa
	v_fmac_f64_e32 v[76:77], s[6:7], v[42:43]
	s_mov_b32 s7, 0xbfd5d0dc
	s_mov_b32 s1, 0xbff2aaaa
	v_fma_f64 v[42:43], v[42:43], s[6:7], -v[56:57]
	v_fma_f64 v[56:57], s[0:1], v[58:59], v[44:45]
	v_add_f64 v[88:89], v[50:51], v[56:57]
	v_add_f64 v[50:51], v[52:53], v[56:57]
	v_fma_f64 v[52:53], s[0:1], v[66:67], v[46:47]
	s_mov_b32 s0, 0x37c3f68c
	v_fma_f64 v[40:41], v[40:41], s[6:7], -v[64:65]
	s_mov_b32 s1, 0x3fdc38aa
	v_add_f64 v[48:49], v[48:49], v[56:57]
	v_add_f64 v[90:91], v[62:63], v[52:53]
	;; [unrolled: 1-line block ×4, first 2 shown]
	v_fmac_f64_e32 v[80:81], s[0:1], v[72:73]
	v_fmac_f64_e32 v[76:77], s[0:1], v[60:61]
	v_fmac_f64_e32 v[78:79], s[0:1], v[72:73]
	v_fmac_f64_e32 v[82:83], s[0:1], v[60:61]
	v_fmac_f64_e32 v[40:41], s[0:1], v[72:73]
	v_fmac_f64_e32 v[42:43], s[0:1], v[60:61]
	v_add_f64 v[52:53], v[50:51], -v[82:83]
	v_add_f64 v[54:55], v[78:79], v[56:57]
	v_add_f64 v[64:65], v[82:83], v[50:51]
	v_add_f64 v[66:67], v[56:57], -v[78:79]
	v_add_f64 v[56:57], v[42:43], v[48:49]
	v_add_f64 v[58:59], v[62:63], -v[40:41]
	v_add_f64 v[60:61], v[48:49], -v[42:43]
	v_add_f64 v[62:63], v[40:41], v[62:63]
	v_add_f64 v[48:49], v[76:77], v[88:89]
	v_add_f64 v[50:51], v[90:91], -v[80:81]
	v_add_f64 v[40:41], v[88:89], -v[76:77]
	v_add_f64 v[42:43], v[80:81], v[90:91]
	s_and_saveexec_b64 s[0:1], s[2:3]
	s_cbranch_execz .LBB0_11
; %bb.10:
	ds_write_b128 v70, v[44:47]
	ds_write_b128 v70, v[48:51] offset:864
	ds_write_b128 v70, v[56:59] offset:1728
	ds_write_b128 v70, v[52:55] offset:2592
	ds_write_b128 v70, v[64:67] offset:3456
	ds_write_b128 v70, v[60:63] offset:4320
	ds_write_b128 v70, v[40:43] offset:5184
.LBB0_11:
	s_or_b64 exec, exec, s[0:1]
	s_waitcnt lgkmcnt(0)
	s_barrier
	s_and_saveexec_b64 s[0:1], s[4:5]
	s_cbranch_execz .LBB0_13
; %bb.12:
	v_mov_b32_e32 v71, 0
	v_lshl_add_u64 v[88:89], s[14:15], 0, v[70:71]
	v_add_co_u32_e32 v76, vcc, 0x1000, v88
	ds_read_b128 v[72:75], v70
	s_nop 0
	v_addc_co_u32_e32 v77, vcc, 0, v89, vcc
	global_load_dwordx4 v[76:79], v[76:77], off offset:1952
	s_mov_b64 s[6:7], 0x17a0
	v_lshl_add_u64 v[90:91], v[88:89], 0, s[6:7]
	s_movk_i32 s6, 0x2000
	s_waitcnt vmcnt(0) lgkmcnt(0)
	v_mul_f64 v[80:81], v[74:75], v[78:79]
	v_mul_f64 v[82:83], v[72:73], v[78:79]
	v_fma_f64 v[80:81], v[72:73], v[76:77], -v[80:81]
	v_fmac_f64_e32 v[82:83], v[74:75], v[76:77]
	global_load_dwordx4 v[76:79], v[90:91], off offset:1008
	ds_read_b128 v[72:75], v70 offset:1008
	ds_write_b128 v70, v[80:83]
	s_waitcnt vmcnt(0) lgkmcnt(1)
	v_mul_f64 v[80:81], v[74:75], v[78:79]
	v_mul_f64 v[82:83], v[72:73], v[78:79]
	v_fma_f64 v[80:81], v[72:73], v[76:77], -v[80:81]
	v_fmac_f64_e32 v[82:83], v[74:75], v[76:77]
	global_load_dwordx4 v[76:79], v[90:91], off offset:2016
	ds_read_b128 v[72:75], v70 offset:2016
	ds_write_b128 v70, v[80:83] offset:1008
	s_waitcnt vmcnt(0) lgkmcnt(1)
	v_mul_f64 v[80:81], v[74:75], v[78:79]
	v_mul_f64 v[82:83], v[72:73], v[78:79]
	v_fma_f64 v[80:81], v[72:73], v[76:77], -v[80:81]
	v_fmac_f64_e32 v[82:83], v[74:75], v[76:77]
	global_load_dwordx4 v[76:79], v[90:91], off offset:3024
	ds_read_b128 v[72:75], v70 offset:3024
	ds_write_b128 v70, v[80:83] offset:2016
	;; [unrolled: 8-line block ×3, first 2 shown]
	s_waitcnt vmcnt(0) lgkmcnt(1)
	v_mul_f64 v[80:81], v[74:75], v[78:79]
	v_mul_f64 v[82:83], v[72:73], v[78:79]
	v_fma_f64 v[80:81], v[72:73], v[76:77], -v[80:81]
	v_fmac_f64_e32 v[82:83], v[74:75], v[76:77]
	v_add_co_u32_e32 v76, vcc, s6, v88
	ds_read_b128 v[72:75], v70 offset:5040
	s_nop 0
	v_addc_co_u32_e32 v77, vcc, 0, v89, vcc
	global_load_dwordx4 v[76:79], v[76:77], off offset:2896
	ds_write_b128 v70, v[80:83] offset:4032
	s_waitcnt vmcnt(0) lgkmcnt(1)
	v_mul_f64 v[80:81], v[74:75], v[78:79]
	v_mul_f64 v[82:83], v[72:73], v[78:79]
	v_fma_f64 v[80:81], v[72:73], v[76:77], -v[80:81]
	v_fmac_f64_e32 v[82:83], v[74:75], v[76:77]
	ds_write_b128 v70, v[80:83] offset:5040
.LBB0_13:
	s_or_b64 exec, exec, s[0:1]
	s_waitcnt lgkmcnt(0)
	s_barrier
	s_and_saveexec_b64 s[0:1], s[4:5]
	s_cbranch_execz .LBB0_15
; %bb.14:
	ds_read_b128 v[44:47], v70
	ds_read_b128 v[48:51], v70 offset:1008
	ds_read_b128 v[56:59], v70 offset:2016
	;; [unrolled: 1-line block ×5, first 2 shown]
.LBB0_15:
	s_or_b64 exec, exec, s[0:1]
	s_waitcnt lgkmcnt(1)
	v_add_f64 v[74:75], v[56:57], v[64:65]
	s_mov_b32 s0, 0xe8584caa
	v_add_f64 v[72:73], v[44:45], v[56:57]
	v_fmac_f64_e32 v[44:45], -0.5, v[74:75]
	v_add_f64 v[76:77], v[58:59], -v[66:67]
	s_mov_b32 s1, 0xbfebb67a
	s_mov_b32 s7, 0x3febb67a
	s_mov_b32 s6, s0
	v_fma_f64 v[74:75], s[0:1], v[76:77], v[44:45]
	v_fmac_f64_e32 v[44:45], s[6:7], v[76:77]
	v_add_f64 v[76:77], v[46:47], v[58:59]
	v_add_f64 v[58:59], v[58:59], v[66:67]
	v_fmac_f64_e32 v[46:47], -0.5, v[58:59]
	v_add_f64 v[56:57], v[56:57], -v[64:65]
	v_add_f64 v[76:77], v[76:77], v[66:67]
	v_fma_f64 v[66:67], s[6:7], v[56:57], v[46:47]
	v_fmac_f64_e32 v[46:47], s[0:1], v[56:57]
	v_add_f64 v[56:57], v[48:49], v[52:53]
	v_add_f64 v[72:73], v[72:73], v[64:65]
	s_waitcnt lgkmcnt(0)
	v_add_f64 v[64:65], v[56:57], v[60:61]
	v_add_f64 v[56:57], v[52:53], v[60:61]
	v_fmac_f64_e32 v[48:49], -0.5, v[56:57]
	v_add_f64 v[56:57], v[54:55], -v[62:63]
	v_fma_f64 v[58:59], s[0:1], v[56:57], v[48:49]
	v_fmac_f64_e32 v[48:49], s[6:7], v[56:57]
	v_add_f64 v[56:57], v[50:51], v[54:55]
	v_add_f64 v[54:55], v[54:55], v[62:63]
	v_fmac_f64_e32 v[50:51], -0.5, v[54:55]
	v_add_f64 v[52:53], v[52:53], -v[60:61]
	v_fma_f64 v[54:55], s[6:7], v[52:53], v[50:51]
	v_fmac_f64_e32 v[50:51], s[0:1], v[52:53]
	v_add_f64 v[78:79], v[56:57], v[62:63]
	v_mul_f64 v[60:61], v[54:55], s[0:1]
	v_mul_f64 v[62:63], v[50:51], s[0:1]
	v_mul_f64 v[80:81], v[54:55], 0.5
	v_mul_f64 v[82:83], v[50:51], -0.5
	v_fmac_f64_e32 v[60:61], 0.5, v[58:59]
	v_fmac_f64_e32 v[62:63], -0.5, v[48:49]
	v_fmac_f64_e32 v[80:81], s[6:7], v[58:59]
	v_fmac_f64_e32 v[82:83], s[6:7], v[48:49]
	v_add_f64 v[48:49], v[72:73], -v[64:65]
	v_add_f64 v[52:53], v[74:75], -v[60:61]
	;; [unrolled: 1-line block ×6, first 2 shown]
	s_barrier
	s_and_saveexec_b64 s[16:17], s[4:5]
	s_cbranch_execz .LBB0_17
; %bb.16:
	v_add_f64 v[80:81], v[66:67], v[80:81]
	v_add_f64 v[66:67], v[76:77], v[78:79]
	;; [unrolled: 1-line block ×4, first 2 shown]
	v_lshlrev_b32_e32 v60, 4, v84
	v_add_f64 v[46:47], v[46:47], v[82:83]
	v_add_f64 v[44:45], v[44:45], v[62:63]
	ds_write_b128 v60, v[64:67]
	ds_write_b128 v60, v[78:81] offset:16
	ds_write_b128 v60, v[44:47] offset:32
	;; [unrolled: 1-line block ×5, first 2 shown]
.LBB0_17:
	s_or_b64 exec, exec, s[16:17]
	s_waitcnt lgkmcnt(0)
	s_barrier
	ds_read_b128 v[44:47], v70 offset:2016
	ds_read_b128 v[60:63], v70
	ds_read_b128 v[64:67], v70 offset:4032
	s_waitcnt lgkmcnt(0)
	s_barrier
	v_mul_f64 v[72:73], v[6:7], v[46:47]
	v_fmac_f64_e32 v[72:73], v[4:5], v[44:45]
	v_mul_f64 v[6:7], v[6:7], v[44:45]
	v_mul_f64 v[44:45], v[2:3], v[66:67]
	v_fmac_f64_e32 v[44:45], v[0:1], v[64:65]
	v_mul_f64 v[2:3], v[2:3], v[64:65]
	v_fma_f64 v[6:7], v[4:5], v[46:47], -v[6:7]
	v_fma_f64 v[46:47], v[0:1], v[66:67], -v[2:3]
	v_add_f64 v[2:3], v[72:73], v[44:45]
	v_add_f64 v[0:1], v[60:61], v[72:73]
	v_fmac_f64_e32 v[60:61], -0.5, v[2:3]
	v_add_f64 v[2:3], v[6:7], -v[46:47]
	v_fma_f64 v[4:5], s[0:1], v[2:3], v[60:61]
	v_fmac_f64_e32 v[60:61], s[6:7], v[2:3]
	v_add_f64 v[2:3], v[62:63], v[6:7]
	v_add_f64 v[6:7], v[6:7], v[46:47]
	;; [unrolled: 1-line block ×3, first 2 shown]
	v_fmac_f64_e32 v[62:63], -0.5, v[6:7]
	v_add_f64 v[44:45], v[72:73], -v[44:45]
	v_add_f64 v[2:3], v[2:3], v[46:47]
	v_fma_f64 v[6:7], s[6:7], v[44:45], v[62:63]
	v_fmac_f64_e32 v[62:63], s[0:1], v[44:45]
	ds_write_b128 v85, v[0:3]
	ds_write_b128 v85, v[4:7] offset:96
	ds_write_b128 v85, v[60:63] offset:192
	s_waitcnt lgkmcnt(0)
	s_barrier
	ds_read_b128 v[0:3], v70 offset:2016
	ds_read_b128 v[4:7], v70
	ds_read_b128 v[44:47], v70 offset:4032
	s_waitcnt lgkmcnt(0)
	s_barrier
	v_mul_f64 v[60:61], v[14:15], v[2:3]
	v_fmac_f64_e32 v[60:61], v[12:13], v[0:1]
	v_mul_f64 v[0:1], v[14:15], v[0:1]
	v_mul_f64 v[14:15], v[10:11], v[46:47]
	v_fma_f64 v[12:13], v[12:13], v[2:3], -v[0:1]
	v_fmac_f64_e32 v[14:15], v[8:9], v[44:45]
	v_mul_f64 v[0:1], v[10:11], v[44:45]
	v_fma_f64 v[10:11], v[8:9], v[46:47], -v[0:1]
	v_add_f64 v[2:3], v[60:61], v[14:15]
	v_add_f64 v[0:1], v[4:5], v[60:61]
	v_fmac_f64_e32 v[4:5], -0.5, v[2:3]
	v_add_f64 v[2:3], v[12:13], -v[10:11]
	v_fma_f64 v[8:9], s[0:1], v[2:3], v[4:5]
	v_fmac_f64_e32 v[4:5], s[6:7], v[2:3]
	v_add_f64 v[2:3], v[6:7], v[12:13]
	v_add_f64 v[2:3], v[2:3], v[10:11]
	v_add_f64 v[10:11], v[12:13], v[10:11]
	v_fmac_f64_e32 v[6:7], -0.5, v[10:11]
	v_add_f64 v[12:13], v[60:61], -v[14:15]
	v_add_f64 v[0:1], v[0:1], v[14:15]
	v_fma_f64 v[10:11], s[6:7], v[12:13], v[6:7]
	v_fmac_f64_e32 v[6:7], s[0:1], v[12:13]
	ds_write_b128 v86, v[0:3]
	ds_write_b128 v86, v[8:11] offset:288
	ds_write_b128 v86, v[4:7] offset:576
	s_waitcnt lgkmcnt(0)
	s_barrier
	s_and_saveexec_b64 s[0:1], s[2:3]
	s_cbranch_execz .LBB0_19
; %bb.18:
	ds_read_b128 v[0:3], v70
	ds_read_b128 v[8:11], v70 offset:864
	ds_read_b128 v[4:7], v70 offset:1728
	;; [unrolled: 1-line block ×6, first 2 shown]
.LBB0_19:
	s_or_b64 exec, exec, s[0:1]
	s_and_saveexec_b64 s[0:1], s[2:3]
	s_cbranch_execz .LBB0_21
; %bb.20:
	s_waitcnt lgkmcnt(5)
	v_mul_f64 v[12:13], v[30:31], v[10:11]
	v_fmac_f64_e32 v[12:13], v[28:29], v[8:9]
	s_waitcnt lgkmcnt(4)
	v_mul_f64 v[66:67], v[26:27], v[6:7]
	v_mul_f64 v[8:9], v[30:31], v[8:9]
	s_waitcnt lgkmcnt(0)
	v_mul_f64 v[14:15], v[38:39], v[42:43]
	v_fmac_f64_e32 v[66:67], v[24:25], v[4:5]
	v_mul_f64 v[72:73], v[34:35], v[58:59]
	v_mul_f64 v[38:39], v[38:39], v[40:41]
	v_fma_f64 v[8:9], v[28:29], v[10:11], -v[8:9]
	v_mul_f64 v[28:29], v[34:35], v[56:57]
	v_mul_f64 v[4:5], v[26:27], v[4:5]
	v_fmac_f64_e32 v[14:15], v[36:37], v[40:41]
	v_mul_f64 v[46:47], v[18:19], v[54:55]
	v_mul_f64 v[60:61], v[22:23], v[50:51]
	v_fmac_f64_e32 v[72:73], v[32:33], v[56:57]
	v_fma_f64 v[36:37], v[36:37], v[42:43], -v[38:39]
	v_fma_f64 v[28:29], v[32:33], v[58:59], -v[28:29]
	;; [unrolled: 1-line block ×3, first 2 shown]
	v_mul_f64 v[22:23], v[22:23], v[48:49]
	v_mul_f64 v[18:19], v[18:19], v[52:53]
	v_add_f64 v[44:45], v[12:13], -v[14:15]
	v_fmac_f64_e32 v[46:47], v[16:17], v[52:53]
	v_fmac_f64_e32 v[60:61], v[20:21], v[48:49]
	v_add_f64 v[10:11], v[8:9], v[36:37]
	v_add_f64 v[24:25], v[4:5], v[28:29]
	v_fma_f64 v[20:21], v[20:21], v[50:51], -v[22:23]
	v_fma_f64 v[16:17], v[16:17], v[54:55], -v[18:19]
	v_add_f64 v[12:13], v[12:13], v[14:15]
	v_add_f64 v[14:15], v[66:67], v[72:73]
	;; [unrolled: 1-line block ×9, first 2 shown]
	s_mov_b32 s18, 0xaaaaaaaa
	v_add_f64 v[0:1], v[0:1], v[32:33]
	v_add_f64 v[62:63], v[46:47], -v[60:61]
	v_add_f64 v[74:75], v[66:67], -v[72:73]
	s_mov_b32 s16, 0xe976ee23
	s_mov_b32 s19, 0xbff2aaaa
	v_mov_b64_e32 v[22:23], v[2:3]
	s_mov_b32 s20, 0x37e14327
	v_mov_b64_e32 v[38:39], v[0:1]
	v_add_f64 v[16:17], v[16:17], -v[20:21]
	v_add_f64 v[28:29], v[4:5], -v[28:29]
	;; [unrolled: 1-line block ×3, first 2 shown]
	s_mov_b32 s17, 0x3fe11646
	v_fmac_f64_e32 v[22:23], s[18:19], v[6:7]
	v_add_f64 v[6:7], v[10:11], -v[18:19]
	s_mov_b32 s21, 0x3fe948f6
	s_mov_b32 s22, 0x36b3c0b5
	v_fmac_f64_e32 v[38:39], s[18:19], v[32:33]
	v_add_f64 v[32:33], v[12:13], -v[34:35]
	v_add_f64 v[4:5], v[16:17], -v[28:29]
	;; [unrolled: 1-line block ×3, first 2 shown]
	v_mul_f64 v[76:77], v[76:77], s[16:17]
	v_add_f64 v[62:63], v[62:63], v[74:75]
	v_mul_f64 v[26:27], v[6:7], s[20:21]
	v_add_f64 v[6:7], v[18:19], -v[24:25]
	s_mov_b32 s23, 0x3fac98ee
	v_mul_f64 v[32:33], v[32:33], s[20:21]
	v_add_f64 v[8:9], v[8:9], -v[36:37]
	v_mul_f64 v[36:37], v[4:5], s[16:17]
	s_mov_b32 s16, 0x429ad128
	v_add_f64 v[24:25], v[24:25], -v[10:11]
	s_mov_b32 s19, 0xbfe77f67
	s_mov_b32 s18, 0x5476071b
	v_add_f64 v[12:13], v[14:15], -v[12:13]
	s_mov_b32 s7, 0xbfd5d0dc
	s_mov_b32 s6, 0xb247c609
	v_add_f64 v[62:63], v[62:63], v[44:45]
	v_mul_f64 v[18:19], v[6:7], s[22:23]
	v_add_f64 v[34:35], v[34:35], -v[14:15]
	v_add_f64 v[20:21], v[8:9], -v[16:17]
	v_add_f64 v[4:5], v[16:17], v[28:29]
	v_add_f64 v[44:45], v[74:75], -v[44:45]
	s_mov_b32 s17, 0xbfebfeb5
	v_fma_f64 v[10:11], v[24:25], s[18:19], -v[26:27]
	v_fma_f64 v[14:15], v[12:13], s[18:19], -v[32:33]
	v_add_f64 v[28:29], v[28:29], -v[8:9]
	s_mov_b32 s19, 0x3fe77f67
	v_fma_f64 v[78:79], s[6:7], v[64:65], v[76:77]
	s_mov_b32 s2, 0x37c3f68c
	v_fma_f64 v[6:7], s[22:23], v[6:7], v[26:27]
	v_mul_f64 v[40:41], v[34:35], s[22:23]
	v_fma_f64 v[34:35], s[22:23], v[34:35], v[32:33]
	v_fma_f64 v[42:43], s[6:7], v[20:21], v[36:37]
	v_add_f64 v[16:17], v[4:5], v[8:9]
	v_mul_f64 v[46:47], v[44:45], s[16:17]
	s_mov_b32 s7, 0x3fd5d0dc
	v_add_f64 v[32:33], v[14:15], v[38:39]
	v_mul_f64 v[8:9], v[28:29], s[16:17]
	v_fma_f64 v[14:15], v[24:25], s[18:19], -v[18:19]
	s_mov_b32 s3, 0xbfdc38aa
	v_add_f64 v[30:31], v[6:7], v[22:23]
	v_fma_f64 v[46:47], v[64:65], s[6:7], -v[46:47]
	v_add_f64 v[26:27], v[10:11], v[22:23]
	v_fma_f64 v[20:21], v[20:21], s[6:7], -v[8:9]
	;; [unrolled: 2-line block ×3, first 2 shown]
	v_fma_f64 v[12:13], v[12:13], s[18:19], -v[40:41]
	v_fma_f64 v[28:29], v[28:29], s[16:17], -v[36:37]
	v_fmac_f64_e32 v[78:79], s[2:3], v[62:63]
	v_add_f64 v[34:35], v[34:35], v[38:39]
	v_fmac_f64_e32 v[42:43], s[2:3], v[16:17]
	v_fmac_f64_e32 v[46:47], s[2:3], v[62:63]
	;; [unrolled: 1-line block ×4, first 2 shown]
	v_add_f64 v[24:25], v[12:13], v[38:39]
	v_fmac_f64_e32 v[28:29], s[2:3], v[16:17]
	v_add_f64 v[6:7], v[78:79], v[30:31]
	v_add_f64 v[4:5], v[34:35], -v[42:43]
	v_add_f64 v[10:11], v[46:47], v[26:27]
	v_add_f64 v[8:9], v[32:33], -v[20:21]
	v_add_f64 v[14:15], v[18:19], -v[22:23]
	v_add_f64 v[12:13], v[28:29], v[24:25]
	v_add_f64 v[18:19], v[22:23], v[18:19]
	v_add_f64 v[16:17], v[24:25], -v[28:29]
	v_add_f64 v[22:23], v[26:27], -v[46:47]
	v_add_f64 v[20:21], v[20:21], v[32:33]
	v_add_f64 v[26:27], v[30:31], -v[78:79]
	v_add_f64 v[24:25], v[42:43], v[34:35]
	ds_write_b128 v70, v[0:3]
	ds_write_b128 v70, v[24:27] offset:864
	ds_write_b128 v70, v[20:23] offset:1728
	;; [unrolled: 1-line block ×6, first 2 shown]
.LBB0_21:
	s_or_b64 exec, exec, s[0:1]
	s_waitcnt lgkmcnt(0)
	s_barrier
	s_and_b64 exec, exec, s[4:5]
	s_cbranch_execz .LBB0_23
; %bb.22:
	v_mov_b32_e32 v71, 0
	s_movk_i32 s0, 0x1000
	v_lshl_add_u64 v[20:21], s[14:15], 0, v[70:71]
	v_add_co_u32_e32 v20, vcc, s0, v20
	global_load_dwordx4 v[0:3], v70, s[14:15]
	global_load_dwordx4 v[4:7], v70, s[14:15] offset:1008
	global_load_dwordx4 v[8:11], v70, s[14:15] offset:2016
	;; [unrolled: 1-line block ×4, first 2 shown]
	v_addc_co_u32_e32 v21, vcc, 0, v21, vcc
	global_load_dwordx4 v[20:23], v[20:21], off offset:944
	v_mad_u64_u32 v[50:51], s[0:1], s10, v68, 0
	v_mad_u64_u32 v[52:53], s[2:3], s8, v69, 0
	v_mov_b32_e32 v54, v51
	v_mov_b32_e32 v56, v53
	v_mad_u64_u32 v[54:55], s[2:3], s11, v68, v[54:55]
	v_mov_b32_e32 v48, s12
	v_mov_b32_e32 v49, s13
	;; [unrolled: 3-line block ×3, first 2 shown]
	v_lshl_add_u64 v[48:49], v[50:51], 4, v[48:49]
	ds_read_b128 v[24:27], v70
	ds_read_b128 v[28:31], v70 offset:1008
	v_mov_b32_e32 v71, 0x3f0
	v_lshl_add_u64 v[48:49], v[52:53], 4, v[48:49]
	s_mul_i32 s4, s9, 0x3f0
	v_mad_u64_u32 v[50:51], s[2:3], s8, v71, v[48:49]
	ds_read_b128 v[32:35], v70 offset:2016
	ds_read_b128 v[36:39], v70 offset:3024
	;; [unrolled: 1-line block ×4, first 2 shown]
	v_add_u32_e32 v51, s4, v51
	v_mad_u64_u32 v[52:53], s[2:3], s8, v71, v[50:51]
	s_mov_b32 s0, 0x6b015ac0
	v_add_u32_e32 v53, s4, v53
	s_mov_b32 s1, 0x3f65ac05
	v_mad_u64_u32 v[54:55], s[2:3], s8, v71, v[52:53]
	v_add_u32_e32 v55, s4, v55
	v_mad_u64_u32 v[56:57], s[2:3], s8, v71, v[54:55]
	v_add_u32_e32 v57, s4, v57
	s_waitcnt vmcnt(5) lgkmcnt(5)
	v_mul_f64 v[58:59], v[26:27], v[2:3]
	v_mul_f64 v[2:3], v[24:25], v[2:3]
	s_waitcnt vmcnt(4) lgkmcnt(4)
	v_mul_f64 v[60:61], v[30:31], v[6:7]
	v_mul_f64 v[6:7], v[28:29], v[6:7]
	;; [unrolled: 3-line block ×4, first 2 shown]
	v_fmac_f64_e32 v[58:59], v[24:25], v[0:1]
	v_fma_f64 v[2:3], v[0:1], v[26:27], -v[2:3]
	v_fmac_f64_e32 v[60:61], v[28:29], v[4:5]
	v_fma_f64 v[6:7], v[4:5], v[30:31], -v[6:7]
	;; [unrolled: 2-line block ×4, first 2 shown]
	v_mul_f64 v[0:1], v[58:59], s[0:1]
	v_mul_f64 v[2:3], v[2:3], s[0:1]
	s_waitcnt vmcnt(1) lgkmcnt(1)
	v_mul_f64 v[66:67], v[42:43], v[18:19]
	v_mul_f64 v[18:19], v[40:41], v[18:19]
	v_mul_f64 v[4:5], v[60:61], s[0:1]
	v_mul_f64 v[6:7], v[6:7], s[0:1]
	v_mul_f64 v[8:9], v[62:63], s[0:1]
	v_mul_f64 v[10:11], v[10:11], s[0:1]
	v_mul_f64 v[12:13], v[64:65], s[0:1]
	v_mul_f64 v[14:15], v[14:15], s[0:1]
	global_store_dwordx4 v[48:49], v[0:3], off
	global_store_dwordx4 v[50:51], v[4:7], off
	;; [unrolled: 1-line block ×4, first 2 shown]
	s_waitcnt vmcnt(4) lgkmcnt(0)
	v_mul_f64 v[0:1], v[46:47], v[22:23]
	v_mul_f64 v[2:3], v[44:45], v[22:23]
	v_fmac_f64_e32 v[66:67], v[40:41], v[16:17]
	v_fma_f64 v[18:19], v[16:17], v[42:43], -v[18:19]
	v_fmac_f64_e32 v[0:1], v[44:45], v[20:21]
	v_fma_f64 v[2:3], v[20:21], v[46:47], -v[2:3]
	v_mul_f64 v[16:17], v[66:67], s[0:1]
	v_mul_f64 v[18:19], v[18:19], s[0:1]
	;; [unrolled: 1-line block ×4, first 2 shown]
	v_mad_u64_u32 v[4:5], s[0:1], s8, v71, v[56:57]
	v_add_u32_e32 v5, s4, v5
	global_store_dwordx4 v[56:57], v[16:19], off
	global_store_dwordx4 v[4:5], v[0:3], off
.LBB0_23:
	s_endpgm
	.section	.rodata,"a",@progbits
	.p2align	6, 0x0
	.amdhsa_kernel bluestein_single_back_len378_dim1_dp_op_CI_CI
		.amdhsa_group_segment_fixed_size 6048
		.amdhsa_private_segment_fixed_size 0
		.amdhsa_kernarg_size 104
		.amdhsa_user_sgpr_count 2
		.amdhsa_user_sgpr_dispatch_ptr 0
		.amdhsa_user_sgpr_queue_ptr 0
		.amdhsa_user_sgpr_kernarg_segment_ptr 1
		.amdhsa_user_sgpr_dispatch_id 0
		.amdhsa_user_sgpr_kernarg_preload_length 0
		.amdhsa_user_sgpr_kernarg_preload_offset 0
		.amdhsa_user_sgpr_private_segment_size 0
		.amdhsa_uses_dynamic_stack 0
		.amdhsa_enable_private_segment 0
		.amdhsa_system_sgpr_workgroup_id_x 1
		.amdhsa_system_sgpr_workgroup_id_y 0
		.amdhsa_system_sgpr_workgroup_id_z 0
		.amdhsa_system_sgpr_workgroup_info 0
		.amdhsa_system_vgpr_workitem_id 0
		.amdhsa_next_free_vgpr 100
		.amdhsa_next_free_sgpr 24
		.amdhsa_accum_offset 100
		.amdhsa_reserve_vcc 1
		.amdhsa_float_round_mode_32 0
		.amdhsa_float_round_mode_16_64 0
		.amdhsa_float_denorm_mode_32 3
		.amdhsa_float_denorm_mode_16_64 3
		.amdhsa_dx10_clamp 1
		.amdhsa_ieee_mode 1
		.amdhsa_fp16_overflow 0
		.amdhsa_tg_split 0
		.amdhsa_exception_fp_ieee_invalid_op 0
		.amdhsa_exception_fp_denorm_src 0
		.amdhsa_exception_fp_ieee_div_zero 0
		.amdhsa_exception_fp_ieee_overflow 0
		.amdhsa_exception_fp_ieee_underflow 0
		.amdhsa_exception_fp_ieee_inexact 0
		.amdhsa_exception_int_div_zero 0
	.end_amdhsa_kernel
	.text
.Lfunc_end0:
	.size	bluestein_single_back_len378_dim1_dp_op_CI_CI, .Lfunc_end0-bluestein_single_back_len378_dim1_dp_op_CI_CI
                                        ; -- End function
	.section	.AMDGPU.csdata,"",@progbits
; Kernel info:
; codeLenInByte = 6024
; NumSgprs: 30
; NumVgprs: 100
; NumAgprs: 0
; TotalNumVgprs: 100
; ScratchSize: 0
; MemoryBound: 0
; FloatMode: 240
; IeeeMode: 1
; LDSByteSize: 6048 bytes/workgroup (compile time only)
; SGPRBlocks: 3
; VGPRBlocks: 12
; NumSGPRsForWavesPerEU: 30
; NumVGPRsForWavesPerEU: 100
; AccumOffset: 100
; Occupancy: 4
; WaveLimiterHint : 1
; COMPUTE_PGM_RSRC2:SCRATCH_EN: 0
; COMPUTE_PGM_RSRC2:USER_SGPR: 2
; COMPUTE_PGM_RSRC2:TRAP_HANDLER: 0
; COMPUTE_PGM_RSRC2:TGID_X_EN: 1
; COMPUTE_PGM_RSRC2:TGID_Y_EN: 0
; COMPUTE_PGM_RSRC2:TGID_Z_EN: 0
; COMPUTE_PGM_RSRC2:TIDIG_COMP_CNT: 0
; COMPUTE_PGM_RSRC3_GFX90A:ACCUM_OFFSET: 24
; COMPUTE_PGM_RSRC3_GFX90A:TG_SPLIT: 0
	.text
	.p2alignl 6, 3212836864
	.fill 256, 4, 3212836864
	.type	__hip_cuid_86e5ef9234e8c230,@object ; @__hip_cuid_86e5ef9234e8c230
	.section	.bss,"aw",@nobits
	.globl	__hip_cuid_86e5ef9234e8c230
__hip_cuid_86e5ef9234e8c230:
	.byte	0                               ; 0x0
	.size	__hip_cuid_86e5ef9234e8c230, 1

	.ident	"AMD clang version 19.0.0git (https://github.com/RadeonOpenCompute/llvm-project roc-6.4.0 25133 c7fe45cf4b819c5991fe208aaa96edf142730f1d)"
	.section	".note.GNU-stack","",@progbits
	.addrsig
	.addrsig_sym __hip_cuid_86e5ef9234e8c230
	.amdgpu_metadata
---
amdhsa.kernels:
  - .agpr_count:     0
    .args:
      - .actual_access:  read_only
        .address_space:  global
        .offset:         0
        .size:           8
        .value_kind:     global_buffer
      - .actual_access:  read_only
        .address_space:  global
        .offset:         8
        .size:           8
        .value_kind:     global_buffer
      - .actual_access:  read_only
        .address_space:  global
        .offset:         16
        .size:           8
        .value_kind:     global_buffer
      - .actual_access:  read_only
        .address_space:  global
        .offset:         24
        .size:           8
        .value_kind:     global_buffer
      - .actual_access:  read_only
        .address_space:  global
        .offset:         32
        .size:           8
        .value_kind:     global_buffer
      - .offset:         40
        .size:           8
        .value_kind:     by_value
      - .address_space:  global
        .offset:         48
        .size:           8
        .value_kind:     global_buffer
      - .address_space:  global
        .offset:         56
        .size:           8
        .value_kind:     global_buffer
      - .address_space:  global
        .offset:         64
        .size:           8
        .value_kind:     global_buffer
      - .address_space:  global
        .offset:         72
        .size:           8
        .value_kind:     global_buffer
      - .offset:         80
        .size:           4
        .value_kind:     by_value
      - .address_space:  global
        .offset:         88
        .size:           8
        .value_kind:     global_buffer
      - .address_space:  global
        .offset:         96
        .size:           8
        .value_kind:     global_buffer
    .group_segment_fixed_size: 6048
    .kernarg_segment_align: 8
    .kernarg_segment_size: 104
    .language:       OpenCL C
    .language_version:
      - 2
      - 0
    .max_flat_workgroup_size: 126
    .name:           bluestein_single_back_len378_dim1_dp_op_CI_CI
    .private_segment_fixed_size: 0
    .sgpr_count:     30
    .sgpr_spill_count: 0
    .symbol:         bluestein_single_back_len378_dim1_dp_op_CI_CI.kd
    .uniform_work_group_size: 1
    .uses_dynamic_stack: false
    .vgpr_count:     100
    .vgpr_spill_count: 0
    .wavefront_size: 64
amdhsa.target:   amdgcn-amd-amdhsa--gfx950
amdhsa.version:
  - 1
  - 2
...

	.end_amdgpu_metadata
